;; amdgpu-corpus repo=ROCm/rocFFT kind=compiled arch=gfx1030 opt=O3
	.text
	.amdgcn_target "amdgcn-amd-amdhsa--gfx1030"
	.amdhsa_code_object_version 6
	.protected	fft_rtc_fwd_len96_factors_2_3_4_4_wgs_64_tpt_8_dim1_sp_op_CI_CI_unitstride_sbrr_C2R_dirReg ; -- Begin function fft_rtc_fwd_len96_factors_2_3_4_4_wgs_64_tpt_8_dim1_sp_op_CI_CI_unitstride_sbrr_C2R_dirReg
	.globl	fft_rtc_fwd_len96_factors_2_3_4_4_wgs_64_tpt_8_dim1_sp_op_CI_CI_unitstride_sbrr_C2R_dirReg
	.p2align	8
	.type	fft_rtc_fwd_len96_factors_2_3_4_4_wgs_64_tpt_8_dim1_sp_op_CI_CI_unitstride_sbrr_C2R_dirReg,@function
fft_rtc_fwd_len96_factors_2_3_4_4_wgs_64_tpt_8_dim1_sp_op_CI_CI_unitstride_sbrr_C2R_dirReg: ; @fft_rtc_fwd_len96_factors_2_3_4_4_wgs_64_tpt_8_dim1_sp_op_CI_CI_unitstride_sbrr_C2R_dirReg
; %bb.0:
	s_load_dwordx4 s[8:11], s[4:5], 0x18
	v_lshrrev_b32_e32 v2, 3, v0
	v_mov_b32_e32 v4, 0
	v_and_b32_e32 v1, 7, v0
	v_lshl_or_b32 v3, s6, 3, v2
	s_waitcnt lgkmcnt(0)
	v_cmp_gt_u64_e32 vcc_lo, s[10:11], v[3:4]
	v_cmp_le_u64_e64 s0, s[10:11], v[3:4]
	s_and_saveexec_b32 s1, s0
	s_xor_b32 s0, exec_lo, s1
; %bb.1:
	v_and_b32_e32 v1, 7, v0
; %bb.2:
	s_or_saveexec_b32 s1, s0
	s_load_dwordx2 s[6:7], s[4:5], 0x0
	s_load_dwordx2 s[2:3], s[8:9], 0x8
	v_mul_u32_u24_e32 v2, 0x61, v2
	v_lshlrev_b32_e32 v10, 3, v2
	s_xor_b32 exec_lo, exec_lo, s1
	s_cbranch_execz .LBB0_6
; %bb.3:
	s_clause 0x1
	s_load_dwordx2 s[8:9], s[4:5], 0x10
	s_load_dwordx2 s[10:11], s[4:5], 0x50
	v_lshlrev_b32_e32 v33, 3, v1
	s_waitcnt lgkmcnt(0)
	s_load_dwordx2 s[8:9], s[8:9], 0x8
	s_waitcnt lgkmcnt(0)
	v_mad_u64_u32 v[4:5], null, s8, v3, 0
	s_mov_b32 s8, exec_lo
	v_mad_u64_u32 v[5:6], null, s9, v3, v[5:6]
	v_lshlrev_b64 v[4:5], 3, v[4:5]
	v_add_co_u32 v4, s0, s10, v4
	v_add_co_ci_u32_e64 v5, s0, s11, v5, s0
	v_add_co_u32 v6, s0, v4, v33
	v_add_co_ci_u32_e64 v7, s0, 0, v5, s0
	s_clause 0xb
	global_load_dwordx2 v[8:9], v[6:7], off
	global_load_dwordx2 v[11:12], v[6:7], off offset:64
	global_load_dwordx2 v[13:14], v[6:7], off offset:128
	;; [unrolled: 1-line block ×11, first 2 shown]
	v_add3_u32 v6, 0, v10, v33
	s_waitcnt vmcnt(10)
	ds_write2_b64 v6, v[8:9], v[11:12] offset1:8
	s_waitcnt vmcnt(8)
	ds_write2_b64 v6, v[13:14], v[15:16] offset0:16 offset1:24
	s_waitcnt vmcnt(6)
	ds_write2_b64 v6, v[17:18], v[19:20] offset0:32 offset1:40
	;; [unrolled: 2-line block ×5, first 2 shown]
	v_cmpx_eq_u32_e32 7, v1
	s_cbranch_execz .LBB0_5
; %bb.4:
	global_load_dwordx2 v[4:5], v[4:5], off offset:768
	v_mov_b32_e32 v1, 7
	s_waitcnt vmcnt(0)
	ds_write_b64 v6, v[4:5] offset:712
.LBB0_5:
	s_or_b32 exec_lo, exec_lo, s8
.LBB0_6:
	s_or_b32 exec_lo, exec_lo, s1
	v_lshl_add_u32 v8, v2, 3, 0
	v_lshlrev_b32_e32 v11, 3, v1
	s_waitcnt lgkmcnt(0)
	s_barrier
	buffer_gl0_inv
	s_mov_b32 s1, exec_lo
	v_add_nc_u32_e32 v9, v8, v11
	v_sub_nc_u32_e32 v12, v8, v11
                                        ; implicit-def: $vgpr6_vgpr7
	ds_read_b32 v13, v9
	ds_read_b32 v14, v12 offset:768
	s_waitcnt lgkmcnt(0)
	v_add_f32_e32 v4, v14, v13
	v_sub_f32_e32 v5, v13, v14
	v_cmpx_ne_u32_e32 0, v1
	s_xor_b32 s1, exec_lo, s1
	s_cbranch_execz .LBB0_8
; %bb.7:
	v_mov_b32_e32 v2, 0
	v_add_f32_e32 v15, v14, v13
	v_sub_f32_e32 v16, v13, v14
	v_lshlrev_b64 v[4:5], 3, v[1:2]
	v_add_co_u32 v4, s0, s6, v4
	v_add_co_ci_u32_e64 v5, s0, s7, v5, s0
	global_load_dwordx2 v[6:7], v[4:5], off offset:752
	ds_read_b32 v4, v12 offset:772
	ds_read_b32 v5, v9 offset:4
	s_waitcnt lgkmcnt(0)
	v_add_f32_e32 v17, v4, v5
	v_sub_f32_e32 v4, v5, v4
	s_waitcnt vmcnt(0)
	v_fma_f32 v13, -v16, v7, v15
	v_fma_f32 v14, v17, v7, -v4
	v_fma_f32 v18, v16, v7, v15
	v_fma_f32 v5, v17, v7, v4
	v_fmac_f32_e32 v13, v6, v17
	v_fmac_f32_e32 v14, v16, v6
	v_fma_f32 v4, -v6, v17, v18
	v_fmac_f32_e32 v5, v16, v6
	v_mov_b32_e32 v7, v2
	v_mov_b32_e32 v6, v1
	ds_write_b64 v12, v[13:14] offset:768
.LBB0_8:
	s_andn2_saveexec_b32 s0, s1
	s_cbranch_execz .LBB0_10
; %bb.9:
	ds_read_b64 v[6:7], v8 offset:384
	s_waitcnt lgkmcnt(0)
	v_add_f32_e32 v13, v6, v6
	v_mul_f32_e32 v14, -2.0, v7
	v_mov_b32_e32 v6, 0
	v_mov_b32_e32 v7, 0
	ds_write_b64 v8, v[13:14] offset:384
.LBB0_10:
	s_or_b32 exec_lo, exec_lo, s0
	v_lshlrev_b64 v[6:7], 3, v[6:7]
	s_add_u32 s0, s6, 0x2f0
	s_addc_u32 s1, s7, 0
	v_or_b32_e32 v34, 24, v1
	v_and_b32_e32 v0, 1, v0
	v_lshlrev_b32_e32 v35, 4, v1
	v_add_co_u32 v6, s0, s0, v6
	v_add_co_ci_u32_e64 v7, s0, s1, v7, s0
	v_lshlrev_b32_e32 v38, 4, v34
	v_lshlrev_b32_e32 v39, 4, v0
	v_add3_u32 v35, 0, v35, v10
	s_clause 0x4
	global_load_dwordx2 v[13:14], v[6:7], off offset:64
	global_load_dwordx2 v[15:16], v[6:7], off offset:128
	;; [unrolled: 1-line block ×5, first 2 shown]
	ds_write_b64 v9, v[4:5]
	ds_read_b64 v[4:5], v9 offset:64
	ds_read_b64 v[21:22], v12 offset:704
	v_add3_u32 v38, 0, v38, v10
	v_cmp_gt_u32_e64 s0, 6, v1
	v_mov_b32_e32 v41, 3
	s_waitcnt lgkmcnt(0)
	v_add_f32_e32 v2, v4, v21
	v_add_f32_e32 v23, v22, v5
	v_sub_f32_e32 v24, v4, v21
	v_sub_f32_e32 v4, v5, v22
	s_waitcnt vmcnt(4)
	v_fma_f32 v25, v24, v14, v2
	v_fma_f32 v5, v23, v14, v4
	v_fma_f32 v21, -v24, v14, v2
	v_fma_f32 v22, v23, v14, -v4
	v_fma_f32 v4, -v13, v23, v25
	v_fmac_f32_e32 v5, v24, v13
	v_fmac_f32_e32 v21, v13, v23
	v_fmac_f32_e32 v22, v24, v13
	ds_write_b64 v9, v[4:5] offset:64
	ds_write_b64 v12, v[21:22] offset:704
	ds_read_b64 v[4:5], v9 offset:128
	ds_read_b64 v[13:14], v12 offset:640
	s_waitcnt lgkmcnt(0)
	v_add_f32_e32 v2, v4, v13
	v_add_f32_e32 v21, v14, v5
	v_sub_f32_e32 v22, v4, v13
	v_sub_f32_e32 v4, v5, v14
	s_waitcnt vmcnt(3)
	v_fma_f32 v23, v22, v16, v2
	v_fma_f32 v5, v21, v16, v4
	v_fma_f32 v13, -v22, v16, v2
	v_fma_f32 v14, v21, v16, -v4
	v_fma_f32 v4, -v15, v21, v23
	v_fmac_f32_e32 v5, v22, v15
	v_fmac_f32_e32 v13, v15, v21
	v_fmac_f32_e32 v14, v22, v15
	ds_write_b64 v9, v[4:5] offset:128
	ds_write_b64 v12, v[13:14] offset:640
	ds_read_b64 v[4:5], v9 offset:192
	ds_read_b64 v[13:14], v12 offset:576
	;; [unrolled: 18-line block ×4, first 2 shown]
	s_waitcnt lgkmcnt(0)
	v_add_f32_e32 v2, v4, v13
	v_add_f32_e32 v15, v14, v5
	v_sub_f32_e32 v16, v4, v13
	v_sub_f32_e32 v4, v5, v14
	s_waitcnt vmcnt(0)
	v_fma_f32 v17, v16, v7, v2
	v_fma_f32 v5, v15, v7, v4
	v_fma_f32 v13, -v16, v7, v2
	v_fma_f32 v14, v15, v7, -v4
	v_add3_u32 v2, 0, v11, v10
	v_fma_f32 v4, -v6, v15, v17
	v_fmac_f32_e32 v5, v16, v6
	v_fmac_f32_e32 v13, v6, v15
	;; [unrolled: 1-line block ×3, first 2 shown]
	ds_write_b64 v9, v[4:5] offset:320
	ds_write_b64 v12, v[13:14] offset:448
	s_waitcnt lgkmcnt(0)
	s_barrier
	buffer_gl0_inv
	s_barrier
	buffer_gl0_inv
	ds_read2_b64 v[12:15], v2 offset0:40 offset1:48
	ds_read_b64 v[4:5], v9
	ds_read2_b64 v[16:19], v2 offset0:8 offset1:16
	ds_read2_b64 v[20:23], v2 offset0:56 offset1:64
	;; [unrolled: 1-line block ×4, first 2 shown]
	ds_read_b64 v[32:33], v2 offset:704
	v_or_b32_e32 v7, 8, v1
	v_or_b32_e32 v6, 16, v1
	v_add_nc_u32_e32 v36, v2, v11
	s_waitcnt lgkmcnt(0)
	s_barrier
	v_lshlrev_b32_e32 v11, 4, v7
	v_lshlrev_b32_e32 v37, 4, v6
	buffer_gl0_inv
	v_add3_u32 v40, 0, v11, v10
	v_add3_u32 v37, 0, v37, v10
	v_sub_f32_e32 v14, v4, v14
	v_sub_f32_e32 v15, v5, v15
	;; [unrolled: 1-line block ×12, first 2 shown]
	v_fma_f32 v4, v4, 2.0, -v14
	v_fma_f32 v5, v5, 2.0, -v15
	;; [unrolled: 1-line block ×12, first 2 shown]
	ds_write2_b64 v36, v[4:5], v[14:15] offset1:1
	ds_write2_b64 v40, v[16:17], v[20:21] offset1:1
	;; [unrolled: 1-line block ×4, first 2 shown]
	ds_write2_b64 v35, v[26:27], v[30:31] offset0:64 offset1:65
	ds_write2_b64 v36, v[11:12], v[32:33] offset0:80 offset1:81
	s_waitcnt lgkmcnt(0)
	s_barrier
	buffer_gl0_inv
	global_load_dwordx4 v[11:14], v39, s[6:7]
	v_lshrrev_b32_e32 v4, 1, v1
	v_add_nc_u32_e32 v15, -6, v1
	v_mov_b32_e32 v5, 0
	v_lshrrev_b32_e32 v16, 1, v7
	v_lshrrev_b32_e32 v17, 1, v6
	v_mul_u32_u24_e32 v4, 6, v4
	v_cndmask_b32_e64 v42, v15, v1, s0
	v_and_b32_e32 v15, 0xff, v7
	v_lshrrev_b32_e32 v18, 1, v34
	v_and_b32_e32 v19, 0xff, v6
	v_or_b32_e32 v20, v4, v0
	v_mul_i32_i24_e32 v4, 3, v42
	v_mul_lo_u16 v15, 0xab, v15
	v_mul_u32_u24_e32 v16, 6, v16
	v_mul_u32_u24_e32 v17, 6, v17
	;; [unrolled: 1-line block ×3, first 2 shown]
	v_lshlrev_b64 v[31:32], 3, v[4:5]
	v_lshrrev_b16 v4, 10, v15
	v_mul_lo_u16 v19, 0xab, v19
	v_lshlrev_b32_e32 v20, 3, v20
	v_or_b32_e32 v16, v16, v0
	v_or_b32_e32 v17, v17, v0
	v_mul_lo_u16 v23, v4, 6
	v_or_b32_e32 v0, v18, v0
	v_lshrrev_b16 v47, 10, v19
	v_add3_u32 v43, 0, v20, v10
	v_lshlrev_b32_e32 v33, 3, v16
	v_lshlrev_b32_e32 v34, 3, v17
	ds_read2_b64 v[15:18], v2 offset0:24 offset1:32
	ds_read2_b64 v[19:22], v2 offset0:56 offset1:64
	v_sub_nc_u16 v48, v7, v23
	ds_read2_b64 v[23:26], v2 offset0:40 offset1:48
	ds_read2_b64 v[27:30], v2 offset0:72 offset1:80
	v_add_co_u32 v35, s0, s6, v31
	v_add_co_ci_u32_e64 v36, s0, s7, v32, s0
	v_add3_u32 v7, 0, v33, v10
	v_add3_u32 v45, 0, v34, v10
	ds_read2_b64 v[31:34], v2 offset0:8 offset1:16
	ds_read_b64 v[37:38], v9
	ds_read_b64 v[39:40], v2 offset:704
	v_mul_lo_u16 v44, v47, 6
	v_lshlrev_b32_e32 v0, 3, v0
	v_mul_lo_u16 v46, v48, 3
	s_waitcnt vmcnt(0) lgkmcnt(0)
	s_barrier
	buffer_gl0_inv
	v_add3_u32 v0, 0, v0, v10
	v_cmp_lt_u32_e64 s0, 5, v1
	v_mul_lo_u16 v4, v4, 24
	v_or_b32_e32 v4, v4, v48
	v_lshlrev_b32_sdwa v4, v41, v4 dst_sel:DWORD dst_unused:UNUSED_PAD src0_sel:DWORD src1_sel:BYTE_0
	v_add3_u32 v4, 0, v4, v10
	v_mul_f32_e32 v54, v12, v23
	v_mul_f32_e32 v57, v12, v26
	;; [unrolled: 1-line block ×11, first 2 shown]
	v_fmac_f32_e32 v54, v11, v24
	v_fma_f32 v24, v11, v25, -v57
	v_mul_f32_e32 v25, v14, v29
	v_fma_f32 v23, v11, v23, -v53
	v_fmac_f32_e32 v58, v11, v26
	v_mul_f32_e32 v26, v12, v20
	v_mul_f32_e32 v53, v12, v19
	;; [unrolled: 1-line block ×3, first 2 shown]
	v_fmac_f32_e32 v56, v13, v28
	v_fma_f32 v28, v13, v29, -v59
	v_mul_f32_e32 v29, v39, v14
	v_fma_f32 v14, v11, v17, -v49
	v_fmac_f32_e32 v50, v11, v18
	v_fma_f32 v17, v13, v21, -v51
	v_fmac_f32_e32 v52, v13, v22
	;; [unrolled: 2-line block ×5, first 2 shown]
	v_add_f32_e32 v13, v14, v17
	v_add_f32_e32 v12, v38, v50
	;; [unrolled: 1-line block ×6, first 2 shown]
	v_sub_f32_e32 v26, v50, v52
	v_add_f32_e32 v50, v24, v28
	v_add_f32_e32 v55, v58, v25
	v_sub_f32_e32 v30, v14, v17
	v_add_f32_e32 v14, v31, v23
	v_sub_f32_e32 v39, v54, v56
	v_add_f32_e32 v22, v32, v54
	v_sub_f32_e32 v49, v23, v27
	v_add_f32_e32 v23, v33, v24
	v_sub_f32_e32 v51, v58, v25
	v_add_f32_e32 v54, v34, v58
	v_sub_f32_e32 v57, v24, v28
	v_add_f32_e32 v24, v15, v18
	v_add_f32_e32 v12, v12, v52
	;; [unrolled: 1-line block ×3, first 2 shown]
	v_sub_f32_e32 v58, v53, v29
	v_fma_f32 v37, -0.5, v13, v37
	v_add_f32_e32 v59, v16, v53
	v_add_f32_e32 v53, v53, v29
	v_fmac_f32_e32 v38, -0.5, v19
	v_add_f32_e32 v11, v11, v17
	v_sub_f32_e32 v60, v18, v21
	v_fma_f32 v17, -0.5, v20, v31
	v_fma_f32 v18, -0.5, v40, v32
	;; [unrolled: 1-line block ×3, first 2 shown]
	v_fmac_f32_e32 v34, -0.5, v55
	v_add_f32_e32 v19, v23, v28
	v_add_f32_e32 v21, v24, v21
	v_fma_f32 v15, -0.5, v52, v15
	v_fmac_f32_e32 v16, -0.5, v53
	v_fmamk_f32 v23, v26, 0x3f5db3d7, v37
	v_fmamk_f32 v24, v30, 0xbf5db3d7, v38
	v_sub_nc_u16 v31, v6, v44
	v_fmac_f32_e32 v37, 0xbf5db3d7, v26
	v_fmac_f32_e32 v38, 0x3f5db3d7, v30
	v_add_f32_e32 v13, v14, v27
	v_add_f32_e32 v14, v22, v56
	;; [unrolled: 1-line block ×3, first 2 shown]
	v_fmamk_f32 v25, v39, 0x3f5db3d7, v17
	v_fmamk_f32 v26, v49, 0xbf5db3d7, v18
	v_fmac_f32_e32 v17, 0xbf5db3d7, v39
	v_fmac_f32_e32 v18, 0x3f5db3d7, v49
	v_fmamk_f32 v27, v51, 0x3f5db3d7, v33
	v_fmamk_f32 v28, v57, 0xbf5db3d7, v34
	v_add_f32_e32 v22, v59, v29
	v_fmac_f32_e32 v33, 0xbf5db3d7, v51
	v_fmac_f32_e32 v34, 0x3f5db3d7, v57
	v_fmamk_f32 v29, v58, 0x3f5db3d7, v15
	v_fmac_f32_e32 v15, 0xbf5db3d7, v58
	v_fmamk_f32 v30, v60, 0xbf5db3d7, v16
	v_fmac_f32_e32 v16, 0x3f5db3d7, v60
	ds_write2_b64 v43, v[11:12], v[23:24] offset1:2
	ds_write_b64 v43, v[37:38] offset:32
	ds_write2_b64 v7, v[13:14], v[25:26] offset1:2
	ds_write_b64 v7, v[17:18] offset:32
	;; [unrolled: 2-line block ×4, first 2 shown]
	v_lshlrev_b32_sdwa v0, v41, v46 dst_sel:DWORD dst_unused:UNUSED_PAD src0_sel:DWORD src1_sel:BYTE_0
	v_mul_lo_u16 v19, v31, 3
	s_waitcnt lgkmcnt(0)
	s_barrier
	buffer_gl0_inv
	s_clause 0x2
	global_load_dwordx4 v[11:14], v[35:36], off offset:32
	global_load_dwordx2 v[6:7], v[35:36], off offset:48
	global_load_dwordx4 v[15:18], v0, s[6:7] offset:32
	v_lshlrev_b32_sdwa v23, v41, v19 dst_sel:DWORD dst_unused:UNUSED_PAD src0_sel:DWORD src1_sel:BYTE_0
	s_clause 0x2
	global_load_dwordx2 v[43:44], v0, s[6:7] offset:48
	global_load_dwordx4 v[19:22], v23, s[6:7] offset:32
	global_load_dwordx2 v[45:46], v23, s[6:7] offset:48
	v_mul_lo_u16 v32, v47, 24
	v_mul_u32_u24_e32 v35, 3, v1
	ds_read2_b64 v[23:26], v2 offset0:24 offset1:32
	ds_read2_b64 v[27:30], v2 offset0:40 offset1:48
	v_cndmask_b32_e64 v0, 0, 24, s0
	v_or_b32_e32 v36, v32, v31
	ds_read2_b64 v[31:34], v2 offset0:72 offset1:80
	v_lshlrev_b32_e32 v51, 3, v35
	v_or_b32_e32 v0, v0, v42
	v_lshlrev_b32_sdwa v39, v41, v36 dst_sel:DWORD dst_unused:UNUSED_PAD src0_sel:DWORD src1_sel:BYTE_0
	ds_read2_b64 v[35:38], v2 offset0:56 offset1:64
	v_lshlrev_b32_e32 v0, 3, v0
	v_add3_u32 v52, 0, v39, v10
	ds_read2_b64 v[39:42], v2 offset0:8 offset1:16
	ds_read_b64 v[47:48], v9
	ds_read_b64 v[49:50], v2 offset:704
	s_waitcnt vmcnt(0) lgkmcnt(0)
	s_barrier
	v_add3_u32 v0, 0, v0, v10
	buffer_gl0_inv
	v_mul_f32_e32 v10, v12, v24
	v_mul_f32_e32 v12, v12, v23
	v_mul_f32_e32 v53, v14, v30
	v_mul_f32_e32 v14, v14, v29
	v_mul_f32_e32 v54, v7, v32
	v_mul_f32_e32 v7, v7, v31
	v_mul_f32_e32 v55, v16, v26
	v_mul_f32_e32 v16, v16, v25
	v_fma_f32 v10, v11, v23, -v10
	v_fmac_f32_e32 v12, v11, v24
	v_fma_f32 v11, v13, v29, -v53
	v_fmac_f32_e32 v14, v13, v30
	v_mul_f32_e32 v13, v18, v36
	v_mul_f32_e32 v18, v18, v35
	v_mul_f32_e32 v23, v34, v44
	v_mul_f32_e32 v24, v33, v44
	v_fma_f32 v25, v15, v25, -v55
	v_fmac_f32_e32 v16, v15, v26
	v_mul_f32_e32 v15, v28, v20
	v_mul_f32_e32 v20, v27, v20
	;; [unrolled: 1-line block ×4, first 2 shown]
	v_fma_f32 v29, v6, v31, -v54
	v_fmac_f32_e32 v7, v6, v32
	v_mul_f32_e32 v6, v50, v46
	v_mul_f32_e32 v30, v49, v46
	v_fma_f32 v13, v17, v35, -v13
	v_fmac_f32_e32 v18, v17, v36
	v_fma_f32 v17, v33, v43, -v23
	v_fmac_f32_e32 v24, v34, v43
	;; [unrolled: 2-line block ×5, first 2 shown]
	v_sub_f32_e32 v21, v47, v11
	v_sub_f32_e32 v23, v48, v14
	;; [unrolled: 1-line block ×12, first 2 shown]
	v_fma_f32 v29, v47, 2.0, -v21
	v_fma_f32 v30, v48, 2.0, -v23
	;; [unrolled: 1-line block ×8, first 2 shown]
	v_sub_f32_e32 v6, v21, v7
	v_add_f32_e32 v7, v23, v11
	v_fma_f32 v34, v41, 2.0, -v24
	v_fma_f32 v35, v42, 2.0, -v28
	;; [unrolled: 1-line block ×4, first 2 shown]
	v_sub_f32_e32 v10, v26, v14
	v_add_f32_e32 v11, v27, v13
	v_sub_f32_e32 v14, v29, v19
	v_sub_f32_e32 v15, v30, v22
	;; [unrolled: 1-line block ×3, first 2 shown]
	v_add_f32_e32 v13, v28, v17
	v_sub_f32_e32 v18, v31, v25
	v_sub_f32_e32 v19, v32, v33
	v_fma_f32 v17, v23, 2.0, -v7
	v_sub_f32_e32 v22, v34, v36
	v_sub_f32_e32 v23, v35, v37
	v_fma_f32 v16, v21, 2.0, -v6
	v_fma_f32 v20, v26, 2.0, -v10
	;; [unrolled: 1-line block ×11, first 2 shown]
	ds_write2_b64 v0, v[14:15], v[6:7] offset0:12 offset1:18
	ds_write2_b64 v0, v[26:27], v[16:17] offset1:6
	ds_write2_b64 v4, v[28:29], v[20:21] offset1:6
	ds_write2_b64 v4, v[18:19], v[10:11] offset0:12 offset1:18
	ds_write2_b64 v52, v[30:31], v[24:25] offset1:6
	ds_write2_b64 v52, v[22:23], v[12:13] offset0:12 offset1:18
	s_waitcnt lgkmcnt(0)
	s_barrier
	buffer_gl0_inv
	s_clause 0x5
	global_load_dwordx4 v[10:13], v51, s[6:7] offset:176
	global_load_dwordx2 v[6:7], v51, s[6:7] offset:192
	global_load_dwordx4 v[14:17], v51, s[6:7] offset:368
	global_load_dwordx2 v[42:43], v51, s[6:7] offset:384
	;; [unrolled: 2-line block ×3, first 2 shown]
	ds_read2_b64 v[22:25], v2 offset0:24 offset1:32
	ds_read2_b64 v[26:29], v2 offset0:40 offset1:48
	;; [unrolled: 1-line block ×5, first 2 shown]
	ds_read_b64 v[46:47], v9
	ds_read_b64 v[48:49], v2 offset:704
	s_waitcnt vmcnt(0) lgkmcnt(0)
	s_barrier
	buffer_gl0_inv
	v_mul_f32_e32 v0, v11, v23
	v_mul_f32_e32 v4, v11, v22
	;; [unrolled: 1-line block ×13, first 2 shown]
	v_fma_f32 v0, v10, v22, -v0
	v_fmac_f32_e32 v4, v10, v23
	v_fma_f32 v9, v12, v28, -v9
	v_fmac_f32_e32 v11, v12, v29
	v_mul_f32_e32 v12, v26, v19
	v_mul_f32_e32 v10, v37, v21
	;; [unrolled: 1-line block ×4, first 2 shown]
	v_fma_f32 v13, v6, v30, -v13
	v_fmac_f32_e32 v7, v6, v31
	v_mul_f32_e32 v6, v48, v45
	v_fma_f32 v22, v14, v24, -v50
	v_fmac_f32_e32 v15, v14, v25
	v_fma_f32 v14, v16, v34, -v51
	v_fmac_f32_e32 v17, v16, v35
	;; [unrolled: 2-line block ×6, first 2 shown]
	v_sub_f32_e32 v20, v46, v9
	v_sub_f32_e32 v21, v47, v11
	;; [unrolled: 1-line block ×12, first 2 shown]
	v_fma_f32 v28, v46, 2.0, -v20
	v_fma_f32 v29, v47, 2.0, -v21
	;; [unrolled: 1-line block ×8, first 2 shown]
	v_sub_f32_e32 v6, v20, v7
	v_add_f32_e32 v7, v21, v9
	v_fma_f32 v32, v40, 2.0, -v26
	v_fma_f32 v33, v41, 2.0, -v27
	;; [unrolled: 1-line block ×4, first 2 shown]
	v_sub_f32_e32 v9, v24, v13
	v_add_f32_e32 v10, v25, v11
	v_sub_f32_e32 v11, v26, v16
	v_add_f32_e32 v12, v27, v14
	v_sub_f32_e32 v13, v28, v0
	v_sub_f32_e32 v14, v29, v4
	v_sub_f32_e32 v17, v30, v17
	v_sub_f32_e32 v18, v31, v18
	v_fma_f32 v16, v21, 2.0, -v7
	v_sub_f32_e32 v21, v32, v22
	v_sub_f32_e32 v22, v33, v23
	v_fma_f32 v15, v20, 2.0, -v6
	v_fma_f32 v19, v24, 2.0, -v9
	;; [unrolled: 1-line block ×5, first 2 shown]
	ds_write2_b64 v2, v[9:10], v[11:12] offset0:80 offset1:88
	v_fma_f32 v9, v28, 2.0, -v13
	v_fma_f32 v10, v29, 2.0, -v14
	;; [unrolled: 1-line block ×6, first 2 shown]
	ds_write2_b64 v2, v[13:14], v[17:18] offset0:48 offset1:56
	ds_write2_b64 v2, v[19:20], v[23:24] offset0:32 offset1:40
	;; [unrolled: 1-line block ×3, first 2 shown]
	ds_write2_b64 v2, v[9:10], v[11:12] offset1:8
	ds_write2_b64 v2, v[25:26], v[15:16] offset0:16 offset1:24
	s_waitcnt lgkmcnt(0)
	s_barrier
	buffer_gl0_inv
	s_and_saveexec_b32 s0, vcc_lo
	s_cbranch_execz .LBB0_12
; %bb.11:
	v_mad_u64_u32 v[6:7], null, s2, v3, 0
	s_load_dwordx2 s[0:1], s[4:5], 0x58
	v_add_nc_u32_e32 v4, 8, v1
	v_lshlrev_b64 v[14:15], 3, v[4:5]
	v_mov_b32_e32 v0, v7
	v_add_nc_u32_e32 v4, 16, v1
	v_mad_u64_u32 v[2:3], null, s3, v3, v[0:1]
	v_lshl_add_u32 v0, v1, 3, v8
	v_lshlrev_b64 v[16:17], 3, v[4:5]
	v_add_nc_u32_e32 v4, 24, v1
	ds_read2_b64 v[10:13], v0 offset0:16 offset1:24
	v_mov_b32_e32 v7, v2
	v_mov_b32_e32 v2, v5
	v_lshlrev_b64 v[20:21], 3, v[4:5]
	v_add_nc_u32_e32 v4, 32, v1
	v_lshlrev_b64 v[18:19], 3, v[6:7]
	ds_read2_b64 v[6:9], v0 offset1:8
	v_lshlrev_b64 v[2:3], 3, v[1:2]
	s_waitcnt lgkmcnt(0)
	v_add_co_u32 v24, vcc_lo, s0, v18
	v_add_co_ci_u32_e32 v25, vcc_lo, s1, v19, vcc_lo
	v_lshlrev_b64 v[18:19], 3, v[4:5]
	v_add_co_u32 v2, vcc_lo, v24, v2
	v_add_co_ci_u32_e32 v3, vcc_lo, v25, v3, vcc_lo
	v_add_co_u32 v14, vcc_lo, v24, v14
	v_add_co_ci_u32_e32 v15, vcc_lo, v25, v15, vcc_lo
	;; [unrolled: 2-line block ×3, first 2 shown]
	v_add_nc_u32_e32 v4, 40, v1
	global_store_dwordx2 v[2:3], v[6:7], off
	global_store_dwordx2 v[14:15], v[8:9], off
	;; [unrolled: 1-line block ×3, first 2 shown]
	ds_read2_b64 v[6:9], v0 offset0:32 offset1:40
	ds_read2_b64 v[14:17], v0 offset0:48 offset1:56
	v_add_co_u32 v2, vcc_lo, v24, v20
	v_lshlrev_b64 v[10:11], 3, v[4:5]
	v_add_nc_u32_e32 v4, 48, v1
	v_add_co_ci_u32_e32 v3, vcc_lo, v25, v21, vcc_lo
	v_add_co_u32 v18, vcc_lo, v24, v18
	v_lshlrev_b64 v[20:21], 3, v[4:5]
	v_add_nc_u32_e32 v4, 56, v1
	v_add_co_ci_u32_e32 v19, vcc_lo, v25, v19, vcc_lo
	v_add_co_u32 v10, vcc_lo, v24, v10
	v_add_co_ci_u32_e32 v11, vcc_lo, v25, v11, vcc_lo
	v_lshlrev_b64 v[22:23], 3, v[4:5]
	v_add_nc_u32_e32 v4, 64, v1
	v_add_co_u32 v20, vcc_lo, v24, v20
	v_add_co_ci_u32_e32 v21, vcc_lo, v25, v21, vcc_lo
	global_store_dwordx2 v[2:3], v[12:13], off
	s_waitcnt lgkmcnt(1)
	global_store_dwordx2 v[18:19], v[6:7], off
	global_store_dwordx2 v[10:11], v[8:9], off
	s_waitcnt lgkmcnt(0)
	global_store_dwordx2 v[20:21], v[14:15], off
	v_lshlrev_b64 v[2:3], 3, v[4:5]
	v_add_nc_u32_e32 v4, 0x48, v1
	ds_read2_b64 v[6:9], v0 offset0:64 offset1:72
	ds_read2_b64 v[10:13], v0 offset0:80 offset1:88
	v_add_co_u32 v14, vcc_lo, v24, v22
	v_lshlrev_b64 v[18:19], 3, v[4:5]
	v_add_nc_u32_e32 v4, 0x50, v1
	v_add_co_ci_u32_e32 v15, vcc_lo, v25, v23, vcc_lo
	v_add_co_u32 v2, vcc_lo, v24, v2
	v_lshlrev_b64 v[20:21], 3, v[4:5]
	v_add_nc_u32_e32 v4, 0x58, v1
	v_add_co_ci_u32_e32 v3, vcc_lo, v25, v3, vcc_lo
	v_add_co_u32 v0, vcc_lo, v24, v18
	v_lshlrev_b64 v[4:5], 3, v[4:5]
	v_add_co_ci_u32_e32 v1, vcc_lo, v25, v19, vcc_lo
	v_add_co_u32 v18, vcc_lo, v24, v20
	v_add_co_ci_u32_e32 v19, vcc_lo, v25, v21, vcc_lo
	v_add_co_u32 v4, vcc_lo, v24, v4
	v_add_co_ci_u32_e32 v5, vcc_lo, v25, v5, vcc_lo
	global_store_dwordx2 v[14:15], v[16:17], off
	s_waitcnt lgkmcnt(1)
	global_store_dwordx2 v[2:3], v[6:7], off
	global_store_dwordx2 v[0:1], v[8:9], off
	s_waitcnt lgkmcnt(0)
	global_store_dwordx2 v[18:19], v[10:11], off
	global_store_dwordx2 v[4:5], v[12:13], off
.LBB0_12:
	s_endpgm
	.section	.rodata,"a",@progbits
	.p2align	6, 0x0
	.amdhsa_kernel fft_rtc_fwd_len96_factors_2_3_4_4_wgs_64_tpt_8_dim1_sp_op_CI_CI_unitstride_sbrr_C2R_dirReg
		.amdhsa_group_segment_fixed_size 0
		.amdhsa_private_segment_fixed_size 0
		.amdhsa_kernarg_size 96
		.amdhsa_user_sgpr_count 6
		.amdhsa_user_sgpr_private_segment_buffer 1
		.amdhsa_user_sgpr_dispatch_ptr 0
		.amdhsa_user_sgpr_queue_ptr 0
		.amdhsa_user_sgpr_kernarg_segment_ptr 1
		.amdhsa_user_sgpr_dispatch_id 0
		.amdhsa_user_sgpr_flat_scratch_init 0
		.amdhsa_user_sgpr_private_segment_size 0
		.amdhsa_wavefront_size32 1
		.amdhsa_uses_dynamic_stack 0
		.amdhsa_system_sgpr_private_segment_wavefront_offset 0
		.amdhsa_system_sgpr_workgroup_id_x 1
		.amdhsa_system_sgpr_workgroup_id_y 0
		.amdhsa_system_sgpr_workgroup_id_z 0
		.amdhsa_system_sgpr_workgroup_info 0
		.amdhsa_system_vgpr_workitem_id 0
		.amdhsa_next_free_vgpr 61
		.amdhsa_next_free_sgpr 12
		.amdhsa_reserve_vcc 1
		.amdhsa_reserve_flat_scratch 0
		.amdhsa_float_round_mode_32 0
		.amdhsa_float_round_mode_16_64 0
		.amdhsa_float_denorm_mode_32 3
		.amdhsa_float_denorm_mode_16_64 3
		.amdhsa_dx10_clamp 1
		.amdhsa_ieee_mode 1
		.amdhsa_fp16_overflow 0
		.amdhsa_workgroup_processor_mode 1
		.amdhsa_memory_ordered 1
		.amdhsa_forward_progress 0
		.amdhsa_shared_vgpr_count 0
		.amdhsa_exception_fp_ieee_invalid_op 0
		.amdhsa_exception_fp_denorm_src 0
		.amdhsa_exception_fp_ieee_div_zero 0
		.amdhsa_exception_fp_ieee_overflow 0
		.amdhsa_exception_fp_ieee_underflow 0
		.amdhsa_exception_fp_ieee_inexact 0
		.amdhsa_exception_int_div_zero 0
	.end_amdhsa_kernel
	.text
.Lfunc_end0:
	.size	fft_rtc_fwd_len96_factors_2_3_4_4_wgs_64_tpt_8_dim1_sp_op_CI_CI_unitstride_sbrr_C2R_dirReg, .Lfunc_end0-fft_rtc_fwd_len96_factors_2_3_4_4_wgs_64_tpt_8_dim1_sp_op_CI_CI_unitstride_sbrr_C2R_dirReg
                                        ; -- End function
	.section	.AMDGPU.csdata,"",@progbits
; Kernel info:
; codeLenInByte = 4552
; NumSgprs: 14
; NumVgprs: 61
; ScratchSize: 0
; MemoryBound: 0
; FloatMode: 240
; IeeeMode: 1
; LDSByteSize: 0 bytes/workgroup (compile time only)
; SGPRBlocks: 1
; VGPRBlocks: 7
; NumSGPRsForWavesPerEU: 14
; NumVGPRsForWavesPerEU: 61
; Occupancy: 16
; WaveLimiterHint : 1
; COMPUTE_PGM_RSRC2:SCRATCH_EN: 0
; COMPUTE_PGM_RSRC2:USER_SGPR: 6
; COMPUTE_PGM_RSRC2:TRAP_HANDLER: 0
; COMPUTE_PGM_RSRC2:TGID_X_EN: 1
; COMPUTE_PGM_RSRC2:TGID_Y_EN: 0
; COMPUTE_PGM_RSRC2:TGID_Z_EN: 0
; COMPUTE_PGM_RSRC2:TIDIG_COMP_CNT: 0
	.text
	.p2alignl 6, 3214868480
	.fill 48, 4, 3214868480
	.type	__hip_cuid_a2dfc0ba0fe4c6d0,@object ; @__hip_cuid_a2dfc0ba0fe4c6d0
	.section	.bss,"aw",@nobits
	.globl	__hip_cuid_a2dfc0ba0fe4c6d0
__hip_cuid_a2dfc0ba0fe4c6d0:
	.byte	0                               ; 0x0
	.size	__hip_cuid_a2dfc0ba0fe4c6d0, 1

	.ident	"AMD clang version 19.0.0git (https://github.com/RadeonOpenCompute/llvm-project roc-6.4.0 25133 c7fe45cf4b819c5991fe208aaa96edf142730f1d)"
	.section	".note.GNU-stack","",@progbits
	.addrsig
	.addrsig_sym __hip_cuid_a2dfc0ba0fe4c6d0
	.amdgpu_metadata
---
amdhsa.kernels:
  - .args:
      - .actual_access:  read_only
        .address_space:  global
        .offset:         0
        .size:           8
        .value_kind:     global_buffer
      - .actual_access:  read_only
        .address_space:  global
        .offset:         8
        .size:           8
        .value_kind:     global_buffer
      - .actual_access:  read_only
        .address_space:  global
        .offset:         16
        .size:           8
        .value_kind:     global_buffer
      - .actual_access:  read_only
        .address_space:  global
        .offset:         24
        .size:           8
        .value_kind:     global_buffer
      - .offset:         32
        .size:           8
        .value_kind:     by_value
      - .actual_access:  read_only
        .address_space:  global
        .offset:         40
        .size:           8
        .value_kind:     global_buffer
      - .actual_access:  read_only
        .address_space:  global
        .offset:         48
        .size:           8
        .value_kind:     global_buffer
      - .offset:         56
        .size:           4
        .value_kind:     by_value
      - .actual_access:  read_only
        .address_space:  global
        .offset:         64
        .size:           8
        .value_kind:     global_buffer
      - .actual_access:  read_only
        .address_space:  global
        .offset:         72
        .size:           8
        .value_kind:     global_buffer
      - .actual_access:  read_only
        .address_space:  global
        .offset:         80
        .size:           8
        .value_kind:     global_buffer
      - .actual_access:  write_only
        .address_space:  global
        .offset:         88
        .size:           8
        .value_kind:     global_buffer
    .group_segment_fixed_size: 0
    .kernarg_segment_align: 8
    .kernarg_segment_size: 96
    .language:       OpenCL C
    .language_version:
      - 2
      - 0
    .max_flat_workgroup_size: 64
    .name:           fft_rtc_fwd_len96_factors_2_3_4_4_wgs_64_tpt_8_dim1_sp_op_CI_CI_unitstride_sbrr_C2R_dirReg
    .private_segment_fixed_size: 0
    .sgpr_count:     14
    .sgpr_spill_count: 0
    .symbol:         fft_rtc_fwd_len96_factors_2_3_4_4_wgs_64_tpt_8_dim1_sp_op_CI_CI_unitstride_sbrr_C2R_dirReg.kd
    .uniform_work_group_size: 1
    .uses_dynamic_stack: false
    .vgpr_count:     61
    .vgpr_spill_count: 0
    .wavefront_size: 32
    .workgroup_processor_mode: 1
amdhsa.target:   amdgcn-amd-amdhsa--gfx1030
amdhsa.version:
  - 1
  - 2
...

	.end_amdgpu_metadata
